;; amdgpu-corpus repo=ROCm/rocFFT kind=compiled arch=gfx1030 opt=O3
	.text
	.amdgcn_target "amdgcn-amd-amdhsa--gfx1030"
	.amdhsa_code_object_version 6
	.protected	fft_rtc_fwd_len792_factors_2_2_2_3_3_11_wgs_176_tpt_88_dp_op_CI_CI_unitstride_sbrr_C2R_dirReg ; -- Begin function fft_rtc_fwd_len792_factors_2_2_2_3_3_11_wgs_176_tpt_88_dp_op_CI_CI_unitstride_sbrr_C2R_dirReg
	.globl	fft_rtc_fwd_len792_factors_2_2_2_3_3_11_wgs_176_tpt_88_dp_op_CI_CI_unitstride_sbrr_C2R_dirReg
	.p2align	8
	.type	fft_rtc_fwd_len792_factors_2_2_2_3_3_11_wgs_176_tpt_88_dp_op_CI_CI_unitstride_sbrr_C2R_dirReg,@function
fft_rtc_fwd_len792_factors_2_2_2_3_3_11_wgs_176_tpt_88_dp_op_CI_CI_unitstride_sbrr_C2R_dirReg: ; @fft_rtc_fwd_len792_factors_2_2_2_3_3_11_wgs_176_tpt_88_dp_op_CI_CI_unitstride_sbrr_C2R_dirReg
; %bb.0:
	s_clause 0x2
	s_load_dwordx4 s[12:15], s[4:5], 0x0
	s_load_dwordx4 s[8:11], s[4:5], 0x58
	;; [unrolled: 1-line block ×3, first 2 shown]
	v_mul_u32_u24_e32 v1, 0x2e9, v0
	v_mov_b32_e32 v3, 0
	v_lshrrev_b32_e32 v7, 16, v1
	v_mov_b32_e32 v1, 0
	v_mov_b32_e32 v6, v3
	v_mov_b32_e32 v2, 0
	v_lshl_add_u32 v5, s6, 1, v7
	s_waitcnt lgkmcnt(0)
	v_cmp_lt_u64_e64 s0, s[14:15], 2
	s_and_b32 vcc_lo, exec_lo, s0
	s_cbranch_vccnz .LBB0_8
; %bb.1:
	s_load_dwordx2 s[0:1], s[4:5], 0x10
	v_mov_b32_e32 v1, 0
	v_mov_b32_e32 v2, 0
	s_add_u32 s2, s18, 8
	s_addc_u32 s3, s19, 0
	s_add_u32 s6, s16, 8
	s_addc_u32 s7, s17, 0
	v_mov_b32_e32 v45, v2
	v_mov_b32_e32 v44, v1
	s_mov_b64 s[22:23], 1
	s_waitcnt lgkmcnt(0)
	s_add_u32 s20, s0, 8
	s_addc_u32 s21, s1, 0
.LBB0_2:                                ; =>This Inner Loop Header: Depth=1
	s_load_dwordx2 s[24:25], s[20:21], 0x0
                                        ; implicit-def: $vgpr46_vgpr47
	s_mov_b32 s0, exec_lo
	s_waitcnt lgkmcnt(0)
	v_or_b32_e32 v4, s25, v6
	v_cmpx_ne_u64_e32 0, v[3:4]
	s_xor_b32 s1, exec_lo, s0
	s_cbranch_execz .LBB0_4
; %bb.3:                                ;   in Loop: Header=BB0_2 Depth=1
	v_cvt_f32_u32_e32 v4, s24
	v_cvt_f32_u32_e32 v8, s25
	s_sub_u32 s0, 0, s24
	s_subb_u32 s26, 0, s25
	v_fmac_f32_e32 v4, 0x4f800000, v8
	v_rcp_f32_e32 v4, v4
	v_mul_f32_e32 v4, 0x5f7ffffc, v4
	v_mul_f32_e32 v8, 0x2f800000, v4
	v_trunc_f32_e32 v8, v8
	v_fmac_f32_e32 v4, 0xcf800000, v8
	v_cvt_u32_f32_e32 v8, v8
	v_cvt_u32_f32_e32 v4, v4
	v_mul_lo_u32 v9, s0, v8
	v_mul_hi_u32 v10, s0, v4
	v_mul_lo_u32 v11, s26, v4
	v_add_nc_u32_e32 v9, v10, v9
	v_mul_lo_u32 v10, s0, v4
	v_add_nc_u32_e32 v9, v9, v11
	v_mul_hi_u32 v11, v4, v10
	v_mul_lo_u32 v12, v4, v9
	v_mul_hi_u32 v13, v4, v9
	v_mul_hi_u32 v14, v8, v10
	v_mul_lo_u32 v10, v8, v10
	v_mul_hi_u32 v15, v8, v9
	v_mul_lo_u32 v9, v8, v9
	v_add_co_u32 v11, vcc_lo, v11, v12
	v_add_co_ci_u32_e32 v12, vcc_lo, 0, v13, vcc_lo
	v_add_co_u32 v10, vcc_lo, v11, v10
	v_add_co_ci_u32_e32 v10, vcc_lo, v12, v14, vcc_lo
	v_add_co_ci_u32_e32 v11, vcc_lo, 0, v15, vcc_lo
	v_add_co_u32 v9, vcc_lo, v10, v9
	v_add_co_ci_u32_e32 v10, vcc_lo, 0, v11, vcc_lo
	v_add_co_u32 v4, vcc_lo, v4, v9
	v_add_co_ci_u32_e32 v8, vcc_lo, v8, v10, vcc_lo
	v_mul_hi_u32 v9, s0, v4
	v_mul_lo_u32 v11, s26, v4
	v_mul_lo_u32 v10, s0, v8
	v_add_nc_u32_e32 v9, v9, v10
	v_mul_lo_u32 v10, s0, v4
	v_add_nc_u32_e32 v9, v9, v11
	v_mul_hi_u32 v11, v4, v10
	v_mul_lo_u32 v12, v4, v9
	v_mul_hi_u32 v13, v4, v9
	v_mul_hi_u32 v14, v8, v10
	v_mul_lo_u32 v10, v8, v10
	v_mul_hi_u32 v15, v8, v9
	v_mul_lo_u32 v9, v8, v9
	v_add_co_u32 v11, vcc_lo, v11, v12
	v_add_co_ci_u32_e32 v12, vcc_lo, 0, v13, vcc_lo
	v_add_co_u32 v10, vcc_lo, v11, v10
	v_add_co_ci_u32_e32 v10, vcc_lo, v12, v14, vcc_lo
	v_add_co_ci_u32_e32 v11, vcc_lo, 0, v15, vcc_lo
	v_add_co_u32 v9, vcc_lo, v10, v9
	v_add_co_ci_u32_e32 v10, vcc_lo, 0, v11, vcc_lo
	v_add_co_u32 v4, vcc_lo, v4, v9
	v_add_co_ci_u32_e32 v12, vcc_lo, v8, v10, vcc_lo
	v_mul_hi_u32 v14, v5, v4
	v_mad_u64_u32 v[10:11], null, v6, v4, 0
	v_mad_u64_u32 v[8:9], null, v5, v12, 0
	v_mad_u64_u32 v[12:13], null, v6, v12, 0
	v_add_co_u32 v4, vcc_lo, v14, v8
	v_add_co_ci_u32_e32 v8, vcc_lo, 0, v9, vcc_lo
	v_add_co_u32 v4, vcc_lo, v4, v10
	v_add_co_ci_u32_e32 v4, vcc_lo, v8, v11, vcc_lo
	v_add_co_ci_u32_e32 v8, vcc_lo, 0, v13, vcc_lo
	v_add_co_u32 v4, vcc_lo, v4, v12
	v_add_co_ci_u32_e32 v10, vcc_lo, 0, v8, vcc_lo
	v_mul_lo_u32 v11, s25, v4
	v_mad_u64_u32 v[8:9], null, s24, v4, 0
	v_mul_lo_u32 v12, s24, v10
	v_sub_co_u32 v8, vcc_lo, v5, v8
	v_add3_u32 v9, v9, v12, v11
	v_sub_nc_u32_e32 v11, v6, v9
	v_subrev_co_ci_u32_e64 v11, s0, s25, v11, vcc_lo
	v_add_co_u32 v12, s0, v4, 2
	v_add_co_ci_u32_e64 v13, s0, 0, v10, s0
	v_sub_co_u32 v14, s0, v8, s24
	v_sub_co_ci_u32_e32 v9, vcc_lo, v6, v9, vcc_lo
	v_subrev_co_ci_u32_e64 v11, s0, 0, v11, s0
	v_cmp_le_u32_e32 vcc_lo, s24, v14
	v_cmp_eq_u32_e64 s0, s25, v9
	v_cndmask_b32_e64 v14, 0, -1, vcc_lo
	v_cmp_le_u32_e32 vcc_lo, s25, v11
	v_cndmask_b32_e64 v15, 0, -1, vcc_lo
	v_cmp_le_u32_e32 vcc_lo, s24, v8
	;; [unrolled: 2-line block ×3, first 2 shown]
	v_cndmask_b32_e64 v16, 0, -1, vcc_lo
	v_cmp_eq_u32_e32 vcc_lo, s25, v11
	v_cndmask_b32_e64 v8, v16, v8, s0
	v_cndmask_b32_e32 v11, v15, v14, vcc_lo
	v_add_co_u32 v14, vcc_lo, v4, 1
	v_add_co_ci_u32_e32 v15, vcc_lo, 0, v10, vcc_lo
	v_cmp_ne_u32_e32 vcc_lo, 0, v11
	v_cndmask_b32_e32 v9, v15, v13, vcc_lo
	v_cndmask_b32_e32 v11, v14, v12, vcc_lo
	v_cmp_ne_u32_e32 vcc_lo, 0, v8
	v_cndmask_b32_e32 v47, v10, v9, vcc_lo
	v_cndmask_b32_e32 v46, v4, v11, vcc_lo
.LBB0_4:                                ;   in Loop: Header=BB0_2 Depth=1
	s_andn2_saveexec_b32 s0, s1
	s_cbranch_execz .LBB0_6
; %bb.5:                                ;   in Loop: Header=BB0_2 Depth=1
	v_cvt_f32_u32_e32 v4, s24
	s_sub_i32 s1, 0, s24
	v_mov_b32_e32 v47, v3
	v_rcp_iflag_f32_e32 v4, v4
	v_mul_f32_e32 v4, 0x4f7ffffe, v4
	v_cvt_u32_f32_e32 v4, v4
	v_mul_lo_u32 v8, s1, v4
	v_mul_hi_u32 v8, v4, v8
	v_add_nc_u32_e32 v4, v4, v8
	v_mul_hi_u32 v4, v5, v4
	v_mul_lo_u32 v8, v4, s24
	v_add_nc_u32_e32 v9, 1, v4
	v_sub_nc_u32_e32 v8, v5, v8
	v_subrev_nc_u32_e32 v10, s24, v8
	v_cmp_le_u32_e32 vcc_lo, s24, v8
	v_cndmask_b32_e32 v8, v8, v10, vcc_lo
	v_cndmask_b32_e32 v4, v4, v9, vcc_lo
	v_cmp_le_u32_e32 vcc_lo, s24, v8
	v_add_nc_u32_e32 v9, 1, v4
	v_cndmask_b32_e32 v46, v4, v9, vcc_lo
.LBB0_6:                                ;   in Loop: Header=BB0_2 Depth=1
	s_or_b32 exec_lo, exec_lo, s0
	v_mul_lo_u32 v4, v47, s24
	v_mul_lo_u32 v10, v46, s25
	s_load_dwordx2 s[0:1], s[6:7], 0x0
	v_mad_u64_u32 v[8:9], null, v46, s24, 0
	s_load_dwordx2 s[24:25], s[2:3], 0x0
	s_add_u32 s22, s22, 1
	s_addc_u32 s23, s23, 0
	s_add_u32 s2, s2, 8
	s_addc_u32 s3, s3, 0
	s_add_u32 s6, s6, 8
	v_add3_u32 v4, v9, v10, v4
	v_sub_co_u32 v5, vcc_lo, v5, v8
	s_addc_u32 s7, s7, 0
	s_add_u32 s20, s20, 8
	v_sub_co_ci_u32_e32 v4, vcc_lo, v6, v4, vcc_lo
	s_addc_u32 s21, s21, 0
	s_waitcnt lgkmcnt(0)
	v_mul_lo_u32 v6, s0, v4
	v_mul_lo_u32 v8, s1, v5
	v_mad_u64_u32 v[1:2], null, s0, v5, v[1:2]
	v_mul_lo_u32 v4, s24, v4
	v_mul_lo_u32 v9, s25, v5
	v_mad_u64_u32 v[44:45], null, s24, v5, v[44:45]
	v_cmp_ge_u64_e64 s0, s[22:23], s[14:15]
	v_add3_u32 v2, v8, v2, v6
	v_add3_u32 v45, v9, v45, v4
	s_and_b32 vcc_lo, exec_lo, s0
	s_cbranch_vccnz .LBB0_9
; %bb.7:                                ;   in Loop: Header=BB0_2 Depth=1
	v_mov_b32_e32 v5, v46
	v_mov_b32_e32 v6, v47
	s_branch .LBB0_2
.LBB0_8:
	v_mov_b32_e32 v45, v2
	v_mov_b32_e32 v47, v6
	;; [unrolled: 1-line block ×4, first 2 shown]
.LBB0_9:
	s_load_dwordx2 s[0:1], s[4:5], 0x28
	v_and_b32_e32 v3, 1, v7
	v_mul_hi_u32 v4, 0x2e8ba2f, v0
	s_lshl_b64 s[4:5], s[14:15], 3
                                        ; implicit-def: $vgpr48
	s_add_u32 s2, s18, s4
	s_addc_u32 s3, s19, s5
	s_waitcnt lgkmcnt(0)
	v_cmp_gt_u64_e32 vcc_lo, s[0:1], v[46:47]
	v_cmp_le_u64_e64 s1, s[0:1], v[46:47]
	v_cmp_eq_u32_e64 s0, 1, v3
	s_and_saveexec_b32 s6, s1
	s_xor_b32 s1, exec_lo, s6
; %bb.10:
	v_mul_u32_u24_e32 v1, 0x58, v4
                                        ; implicit-def: $vgpr4
	v_sub_nc_u32_e32 v48, v0, v1
                                        ; implicit-def: $vgpr0
                                        ; implicit-def: $vgpr1_vgpr2
; %bb.11:
	s_or_saveexec_b32 s1, s1
	s_load_dwordx2 s[2:3], s[2:3], 0x0
	v_cndmask_b32_e64 v3, 0, 0x319, s0
	v_lshlrev_b32_e32 v40, 4, v3
	s_xor_b32 exec_lo, exec_lo, s1
	s_cbranch_execz .LBB0_15
; %bb.12:
	s_add_u32 s4, s16, s4
	s_addc_u32 s5, s17, s5
	v_lshlrev_b64 v[1:2], 4, v[1:2]
	s_load_dwordx2 s[4:5], s[4:5], 0x0
	s_waitcnt lgkmcnt(0)
	v_mul_lo_u32 v7, s5, v46
	v_mul_lo_u32 v8, s4, v47
	v_mad_u64_u32 v[5:6], null, s4, v46, 0
	s_mov_b32 s4, exec_lo
	v_add3_u32 v6, v6, v8, v7
	v_mul_u32_u24_e32 v7, 0x58, v4
	v_lshlrev_b64 v[4:5], 4, v[5:6]
	v_sub_nc_u32_e32 v48, v0, v7
	v_lshlrev_b32_e32 v41, 4, v48
	v_add_co_u32 v0, s0, s8, v4
	v_add_co_ci_u32_e64 v4, s0, s9, v5, s0
	v_add_co_u32 v0, s0, v0, v1
	v_add_co_ci_u32_e64 v1, s0, v4, v2, s0
	v_add3_u32 v2, 0, v40, v41
	v_add_co_u32 v12, s0, v0, v41
	v_add_co_ci_u32_e64 v13, s0, 0, v1, s0
	s_clause 0x1
	global_load_dwordx4 v[4:7], v[12:13], off
	global_load_dwordx4 v[8:11], v[12:13], off offset:1408
	v_add_co_u32 v14, s0, 0x800, v12
	v_add_co_ci_u32_e64 v15, s0, 0, v13, s0
	v_add_co_u32 v20, s0, 0x1000, v12
	v_add_co_ci_u32_e64 v21, s0, 0, v13, s0
	v_add_co_u32 v24, s0, 0x1800, v12
	v_add_co_ci_u32_e64 v25, s0, 0, v13, s0
	v_add_co_u32 v32, s0, 0x2000, v12
	v_add_co_ci_u32_e64 v33, s0, 0, v13, s0
	v_add_co_u32 v36, s0, 0x2800, v12
	v_add_co_ci_u32_e64 v37, s0, 0, v13, s0
	s_clause 0x6
	global_load_dwordx4 v[12:15], v[14:15], off offset:768
	global_load_dwordx4 v[16:19], v[20:21], off offset:128
	;; [unrolled: 1-line block ×7, first 2 shown]
	s_waitcnt vmcnt(8)
	ds_write_b128 v2, v[4:7]
	s_waitcnt vmcnt(7)
	ds_write_b128 v2, v[8:11] offset:1408
	s_waitcnt vmcnt(6)
	ds_write_b128 v2, v[12:15] offset:2816
	;; [unrolled: 2-line block ×8, first 2 shown]
	v_cmpx_eq_u32_e32 0x57, v48
	s_cbranch_execz .LBB0_14
; %bb.13:
	v_add_co_u32 v0, s0, 0x3000, v0
	v_add_co_ci_u32_e64 v1, s0, 0, v1, s0
	v_mov_b32_e32 v48, 0x57
	global_load_dwordx4 v[4:7], v[0:1], off offset:384
	s_waitcnt vmcnt(0)
	ds_write_b128 v2, v[4:7] offset:11280
.LBB0_14:
	s_or_b32 exec_lo, exec_lo, s4
.LBB0_15:
	s_or_b32 exec_lo, exec_lo, s1
	v_lshl_add_u32 v50, v3, 4, 0
	v_lshlrev_b32_e32 v12, 4, v48
	s_waitcnt lgkmcnt(0)
	s_barrier
	buffer_gl0_inv
	s_add_u32 s1, s12, 0x3160
	v_add_nc_u32_e32 v51, v50, v12
	v_sub_nc_u32_e32 v10, v50, v12
	s_addc_u32 s4, s13, 0
	s_mov_b32 s5, exec_lo
	ds_read_b64 v[6:7], v51
	ds_read_b64 v[8:9], v10 offset:12672
                                        ; implicit-def: $vgpr4_vgpr5
	s_waitcnt lgkmcnt(0)
	v_add_f64 v[0:1], v[6:7], v[8:9]
	v_add_f64 v[2:3], v[6:7], -v[8:9]
	v_cmpx_ne_u32_e32 0, v48
	s_xor_b32 s5, exec_lo, s5
	s_cbranch_execz .LBB0_17
; %bb.16:
	v_mov_b32_e32 v49, 0
	v_add_f64 v[15:16], v[6:7], v[8:9]
	v_add_f64 v[17:18], v[6:7], -v[8:9]
	v_lshlrev_b64 v[0:1], 4, v[48:49]
	v_add_co_u32 v0, s0, s1, v0
	v_add_co_ci_u32_e64 v1, s0, s4, v1, s0
	global_load_dwordx4 v[2:5], v[0:1], off
	ds_read_b64 v[0:1], v10 offset:12680
	ds_read_b64 v[13:14], v51 offset:8
	s_waitcnt lgkmcnt(0)
	v_add_f64 v[6:7], v[0:1], v[13:14]
	v_add_f64 v[0:1], v[13:14], -v[0:1]
	s_waitcnt vmcnt(0)
	v_fma_f64 v[8:9], v[17:18], v[4:5], v[15:16]
	v_fma_f64 v[13:14], -v[17:18], v[4:5], v[15:16]
	v_fma_f64 v[15:16], v[6:7], v[4:5], -v[0:1]
	v_fma_f64 v[4:5], v[6:7], v[4:5], v[0:1]
	v_fma_f64 v[0:1], -v[6:7], v[2:3], v[8:9]
	v_fma_f64 v[6:7], v[6:7], v[2:3], v[13:14]
	v_fma_f64 v[8:9], v[17:18], v[2:3], v[15:16]
	;; [unrolled: 1-line block ×3, first 2 shown]
	v_mov_b32_e32 v4, v48
	v_mov_b32_e32 v5, v49
	ds_write_b128 v10, v[6:9] offset:12672
.LBB0_17:
	s_andn2_saveexec_b32 s0, s5
	s_cbranch_execz .LBB0_19
; %bb.18:
	ds_read_b128 v[4:7], v50 offset:6336
	s_waitcnt lgkmcnt(0)
	v_add_f64 v[13:14], v[4:5], v[4:5]
	v_mul_f64 v[15:16], v[6:7], -2.0
	v_mov_b32_e32 v4, 0
	v_mov_b32_e32 v5, 0
	ds_write_b128 v50, v[13:16] offset:6336
.LBB0_19:
	s_or_b32 exec_lo, exec_lo, s0
	v_lshlrev_b64 v[4:5], 4, v[4:5]
	ds_write_b128 v51, v[0:3]
	v_add_co_u32 v4, s0, s1, v4
	v_add_co_ci_u32_e64 v5, s0, s4, v5, s0
	v_add_co_u32 v13, s0, 0x800, v4
	global_load_dwordx4 v[6:9], v[4:5], off offset:1408
	v_add_co_ci_u32_e64 v14, s0, 0, v5, s0
	v_add_co_u32 v4, s0, 0x1000, v4
	v_add_co_ci_u32_e64 v5, s0, 0, v5, s0
	global_load_dwordx4 v[13:16], v[13:14], off offset:768
	v_cmp_gt_u32_e64 s0, 44, v48
	global_load_dwordx4 v[17:20], v[4:5], off offset:128
	ds_read_b128 v[0:3], v51 offset:1408
	ds_read_b128 v[21:24], v10 offset:11264
	s_waitcnt lgkmcnt(0)
	v_add_f64 v[25:26], v[0:1], v[21:22]
	v_add_f64 v[27:28], v[23:24], v[2:3]
	v_add_f64 v[29:30], v[0:1], -v[21:22]
	v_add_f64 v[0:1], v[2:3], -v[23:24]
	s_waitcnt vmcnt(2)
	v_fma_f64 v[2:3], v[29:30], v[8:9], v[25:26]
	v_fma_f64 v[21:22], v[27:28], v[8:9], v[0:1]
	v_fma_f64 v[23:24], -v[29:30], v[8:9], v[25:26]
	v_fma_f64 v[8:9], v[27:28], v[8:9], -v[0:1]
	v_fma_f64 v[0:1], -v[27:28], v[6:7], v[2:3]
	v_fma_f64 v[2:3], v[29:30], v[6:7], v[21:22]
	v_fma_f64 v[21:22], v[27:28], v[6:7], v[23:24]
	v_fma_f64 v[23:24], v[29:30], v[6:7], v[8:9]
	ds_write_b128 v51, v[0:3] offset:1408
	ds_write_b128 v10, v[21:24] offset:11264
	ds_read_b128 v[0:3], v51 offset:2816
	ds_read_b128 v[6:9], v10 offset:9856
	s_waitcnt lgkmcnt(0)
	v_add_f64 v[21:22], v[0:1], v[6:7]
	v_add_f64 v[23:24], v[8:9], v[2:3]
	v_add_f64 v[25:26], v[0:1], -v[6:7]
	v_add_f64 v[0:1], v[2:3], -v[8:9]
	s_waitcnt vmcnt(1)
	v_fma_f64 v[2:3], v[25:26], v[15:16], v[21:22]
	v_fma_f64 v[6:7], v[23:24], v[15:16], v[0:1]
	v_fma_f64 v[8:9], -v[25:26], v[15:16], v[21:22]
	v_fma_f64 v[15:16], v[23:24], v[15:16], -v[0:1]
	v_fma_f64 v[0:1], -v[23:24], v[13:14], v[2:3]
	v_fma_f64 v[2:3], v[25:26], v[13:14], v[6:7]
	v_fma_f64 v[6:7], v[23:24], v[13:14], v[8:9]
	v_fma_f64 v[8:9], v[25:26], v[13:14], v[15:16]
	ds_write_b128 v51, v[0:3] offset:2816
	ds_write_b128 v10, v[6:9] offset:9856
	;; [unrolled: 18-line block ×3, first 2 shown]
	s_and_saveexec_b32 s1, s0
	s_cbranch_execz .LBB0_21
; %bb.20:
	global_load_dwordx4 v[0:3], v[4:5], off offset:1536
	ds_read_b128 v[4:7], v51 offset:5632
	ds_read_b128 v[13:16], v10 offset:7040
	s_waitcnt lgkmcnt(0)
	v_add_f64 v[8:9], v[4:5], v[13:14]
	v_add_f64 v[17:18], v[15:16], v[6:7]
	v_add_f64 v[13:14], v[4:5], -v[13:14]
	v_add_f64 v[4:5], v[6:7], -v[15:16]
	s_waitcnt vmcnt(0)
	v_fma_f64 v[6:7], v[13:14], v[2:3], v[8:9]
	v_fma_f64 v[15:16], v[17:18], v[2:3], v[4:5]
	v_fma_f64 v[8:9], -v[13:14], v[2:3], v[8:9]
	v_fma_f64 v[19:20], v[17:18], v[2:3], -v[4:5]
	v_fma_f64 v[2:3], -v[17:18], v[0:1], v[6:7]
	v_fma_f64 v[4:5], v[13:14], v[0:1], v[15:16]
	v_fma_f64 v[6:7], v[17:18], v[0:1], v[8:9]
	v_fma_f64 v[8:9], v[13:14], v[0:1], v[19:20]
	ds_write_b128 v51, v[2:5] offset:5632
	ds_write_b128 v10, v[6:9] offset:7040
.LBB0_21:
	s_or_b32 exec_lo, exec_lo, s1
	v_add3_u32 v49, 0, v12, v40
	s_waitcnt lgkmcnt(0)
	s_barrier
	buffer_gl0_inv
	s_barrier
	buffer_gl0_inv
	ds_read_b128 v[0:3], v49 offset:6336
	ds_read_b128 v[4:7], v51
	ds_read_b128 v[13:16], v49 offset:1408
	ds_read_b128 v[8:11], v49 offset:7744
	;; [unrolled: 1-line block ×8, first 2 shown]
	v_add_nc_u32_e32 v41, 0x58, v48
	v_add_nc_u32_e32 v42, 0xb0, v48
	;; [unrolled: 1-line block ×4, first 2 shown]
	s_waitcnt lgkmcnt(0)
	s_barrier
	buffer_gl0_inv
	v_add_f64 v[56:57], v[4:5], -v[0:1]
	v_add_f64 v[58:59], v[6:7], -v[2:3]
	v_add_f64 v[60:61], v[13:14], -v[8:9]
	v_add_f64 v[62:63], v[15:16], -v[10:11]
	v_add_f64 v[17:18], v[21:22], -v[17:18]
	v_add_f64 v[19:20], v[23:24], -v[19:20]
	v_add_f64 v[29:30], v[25:26], -v[29:30]
	v_add_f64 v[31:32], v[27:28], -v[31:32]
	v_add_f64 v[8:9], v[33:34], -v[52:53]
	v_add_f64 v[10:11], v[35:36], -v[54:55]
	v_add_nc_u32_e32 v54, 0x160, v48
	v_fma_f64 v[4:5], v[4:5], 2.0, -v[56:57]
	v_fma_f64 v[6:7], v[6:7], 2.0, -v[58:59]
	;; [unrolled: 1-line block ×10, first 2 shown]
	v_lshlrev_b32_e32 v33, 5, v41
	v_lshlrev_b32_e32 v34, 5, v42
	;; [unrolled: 1-line block ×3, first 2 shown]
	v_add3_u32 v33, 0, v33, v40
	v_add3_u32 v34, 0, v34, v40
	;; [unrolled: 1-line block ×3, first 2 shown]
	ds_write_b128 v12, v[56:59] offset:16
	ds_write_b128 v33, v[60:63] offset:16
	;; [unrolled: 1-line block ×3, first 2 shown]
	ds_write_b128 v12, v[4:7]
	ds_write_b128 v33, v[13:16]
	ds_write_b128 v34, v[21:24]
	ds_write_b128 v35, v[25:28]
	ds_write_b128 v35, v[29:32] offset:16
	s_and_saveexec_b32 s1, s0
	s_cbranch_execz .LBB0_23
; %bb.22:
	v_lshlrev_b32_e32 v4, 5, v54
	v_add3_u32 v4, 0, v4, v40
	ds_write_b128 v4, v[0:3]
	ds_write_b128 v4, v[8:11] offset:16
.LBB0_23:
	s_or_b32 exec_lo, exec_lo, s1
	s_waitcnt lgkmcnt(0)
	s_barrier
	buffer_gl0_inv
	ds_read_b128 v[4:7], v51
	ds_read_b128 v[12:15], v49 offset:1408
	ds_read_b128 v[28:31], v49 offset:6336
	;; [unrolled: 1-line block ×7, first 2 shown]
	v_lshlrev_b32_e32 v53, 1, v41
	v_lshlrev_b32_e32 v52, 1, v42
	;; [unrolled: 1-line block ×3, first 2 shown]
	s_and_saveexec_b32 s1, s0
	s_cbranch_execz .LBB0_25
; %bb.24:
	ds_read_b128 v[0:3], v49 offset:5632
	ds_read_b128 v[8:11], v49 offset:11968
.LBB0_25:
	s_or_b32 exec_lo, exec_lo, s1
	v_and_b32_e32 v56, 1, v48
	v_lshlrev_b32_e32 v54, 1, v54
	v_lshlrev_b32_e32 v55, 4, v56
	global_load_dwordx4 v[57:60], v55, s[12:13]
	v_lshlrev_b32_e32 v55, 1, v48
	s_waitcnt vmcnt(0) lgkmcnt(0)
	s_barrier
	buffer_gl0_inv
	v_mul_f64 v[61:62], v[30:31], v[59:60]
	v_mul_f64 v[63:64], v[28:29], v[59:60]
	v_mul_f64 v[65:66], v[26:27], v[59:60]
	v_mul_f64 v[67:68], v[24:25], v[59:60]
	v_mul_f64 v[69:70], v[38:39], v[59:60]
	v_mul_f64 v[71:72], v[36:37], v[59:60]
	v_mul_f64 v[73:74], v[34:35], v[59:60]
	v_mul_f64 v[75:76], v[32:33], v[59:60]
	v_mul_f64 v[77:78], v[10:11], v[59:60]
	v_mul_f64 v[59:60], v[8:9], v[59:60]
	v_fma_f64 v[28:29], v[28:29], v[57:58], -v[61:62]
	v_fma_f64 v[30:31], v[30:31], v[57:58], v[63:64]
	v_fma_f64 v[61:62], v[24:25], v[57:58], -v[65:66]
	v_fma_f64 v[63:64], v[26:27], v[57:58], v[67:68]
	;; [unrolled: 2-line block ×5, first 2 shown]
	v_add_f64 v[24:25], v[4:5], -v[28:29]
	v_add_f64 v[26:27], v[6:7], -v[30:31]
	;; [unrolled: 1-line block ×10, first 2 shown]
	v_and_or_b32 v61, 0xfc, v55, v56
	v_and_or_b32 v62, 0x1fc, v53, v56
	v_fma_f64 v[57:58], v[4:5], 2.0, -v[24:25]
	v_fma_f64 v[59:60], v[6:7], 2.0, -v[26:27]
	v_fma_f64 v[12:13], v[12:13], 2.0, -v[28:29]
	v_fma_f64 v[14:15], v[14:15], 2.0, -v[30:31]
	v_fma_f64 v[16:17], v[16:17], 2.0, -v[32:33]
	v_fma_f64 v[18:19], v[18:19], 2.0, -v[34:35]
	v_fma_f64 v[20:21], v[20:21], 2.0, -v[36:37]
	v_fma_f64 v[22:23], v[22:23], 2.0, -v[38:39]
	v_fma_f64 v[4:5], v[0:1], 2.0, -v[8:9]
	v_fma_f64 v[6:7], v[2:3], 2.0, -v[10:11]
	v_and_or_b32 v0, 0x3fc, v52, v56
	v_and_or_b32 v1, 0x3fc, v43, v56
	v_lshlrev_b32_e32 v2, 4, v61
	v_lshlrev_b32_e32 v3, 4, v62
	;; [unrolled: 1-line block ×4, first 2 shown]
	v_add3_u32 v2, 0, v2, v40
	v_add3_u32 v3, 0, v3, v40
	;; [unrolled: 1-line block ×4, first 2 shown]
	ds_write_b128 v2, v[24:27] offset:32
	ds_write_b128 v2, v[57:60]
	ds_write_b128 v3, v[12:15]
	ds_write_b128 v3, v[28:31] offset:32
	ds_write_b128 v0, v[16:19]
	ds_write_b128 v0, v[32:35] offset:32
	;; [unrolled: 2-line block ×3, first 2 shown]
	s_and_saveexec_b32 s1, s0
	s_cbranch_execz .LBB0_27
; %bb.26:
	v_and_or_b32 v0, 0x3fc, v54, v56
	v_lshlrev_b32_e32 v0, 4, v0
	v_add3_u32 v0, 0, v0, v40
	ds_write_b128 v0, v[4:7]
	ds_write_b128 v0, v[8:11] offset:32
.LBB0_27:
	s_or_b32 exec_lo, exec_lo, s1
	s_waitcnt lgkmcnt(0)
	s_barrier
	buffer_gl0_inv
	ds_read_b128 v[0:3], v51
	ds_read_b128 v[12:15], v49 offset:1408
	ds_read_b128 v[28:31], v49 offset:6336
	;; [unrolled: 1-line block ×7, first 2 shown]
	s_and_saveexec_b32 s1, s0
	s_cbranch_execz .LBB0_29
; %bb.28:
	ds_read_b128 v[4:7], v49 offset:5632
	ds_read_b128 v[8:11], v49 offset:11968
.LBB0_29:
	s_or_b32 exec_lo, exec_lo, s1
	v_and_b32_e32 v56, 3, v48
	v_lshlrev_b32_e32 v57, 4, v56
	v_and_or_b32 v55, 0xf8, v55, v56
	v_and_or_b32 v53, 0x1f8, v53, v56
	;; [unrolled: 1-line block ×4, first 2 shown]
	global_load_dwordx4 v[57:60], v57, s[12:13] offset:32
	v_lshlrev_b32_e32 v55, 4, v55
	v_lshlrev_b32_e32 v53, 4, v53
	;; [unrolled: 1-line block ×4, first 2 shown]
	s_waitcnt vmcnt(0) lgkmcnt(0)
	v_add3_u32 v55, 0, v55, v40
	v_add3_u32 v53, 0, v53, v40
	;; [unrolled: 1-line block ×3, first 2 shown]
	s_barrier
	buffer_gl0_inv
	v_add3_u32 v43, 0, v43, v40
	v_mul_f64 v[61:62], v[30:31], v[59:60]
	v_mul_f64 v[63:64], v[28:29], v[59:60]
	;; [unrolled: 1-line block ×8, first 2 shown]
	v_fma_f64 v[28:29], v[28:29], v[57:58], -v[61:62]
	v_fma_f64 v[30:31], v[30:31], v[57:58], v[63:64]
	v_fma_f64 v[61:62], v[24:25], v[57:58], -v[65:66]
	v_fma_f64 v[36:37], v[36:37], v[57:58], -v[69:70]
	v_mul_f64 v[69:70], v[10:11], v[59:60]
	v_mul_f64 v[59:60], v[8:9], v[59:60]
	v_fma_f64 v[63:64], v[26:27], v[57:58], v[67:68]
	v_fma_f64 v[38:39], v[38:39], v[57:58], v[71:72]
	v_fma_f64 v[65:66], v[32:33], v[57:58], -v[73:74]
	v_fma_f64 v[67:68], v[34:35], v[57:58], v[75:76]
	v_add_f64 v[24:25], v[0:1], -v[28:29]
	v_add_f64 v[26:27], v[2:3], -v[30:31]
	;; [unrolled: 1-line block ×4, first 2 shown]
	v_fma_f64 v[61:62], v[8:9], v[57:58], -v[69:70]
	v_fma_f64 v[57:58], v[10:11], v[57:58], v[59:60]
	v_add_f64 v[30:31], v[14:15], -v[63:64]
	v_add_f64 v[34:35], v[18:19], -v[38:39]
	;; [unrolled: 1-line block ×4, first 2 shown]
	v_fma_f64 v[8:9], v[0:1], 2.0, -v[24:25]
	v_fma_f64 v[10:11], v[2:3], 2.0, -v[26:27]
	;; [unrolled: 1-line block ×4, first 2 shown]
	v_add_f64 v[0:1], v[4:5], -v[61:62]
	v_add_f64 v[2:3], v[6:7], -v[57:58]
	v_fma_f64 v[14:15], v[14:15], 2.0, -v[30:31]
	v_fma_f64 v[18:19], v[18:19], 2.0, -v[34:35]
	;; [unrolled: 1-line block ×4, first 2 shown]
	ds_write_b128 v55, v[24:27] offset:64
	ds_write_b128 v55, v[8:11]
	ds_write_b128 v53, v[12:15]
	ds_write_b128 v53, v[28:31] offset:64
	ds_write_b128 v52, v[16:19]
	ds_write_b128 v52, v[32:35] offset:64
	ds_write_b128 v43, v[20:23]
	ds_write_b128 v43, v[36:39] offset:64
	s_and_saveexec_b32 s1, s0
	s_cbranch_execz .LBB0_31
; %bb.30:
	v_fma_f64 v[6:7], v[6:7], 2.0, -v[2:3]
	v_fma_f64 v[4:5], v[4:5], 2.0, -v[0:1]
	v_and_or_b32 v8, 0x3f8, v54, v56
	v_lshlrev_b32_e32 v8, 4, v8
	v_add3_u32 v8, 0, v8, v40
	ds_write_b128 v8, v[4:7]
	ds_write_b128 v8, v[0:3] offset:64
.LBB0_31:
	s_or_b32 exec_lo, exec_lo, s1
	v_and_b32_e32 v43, 7, v48
	s_waitcnt lgkmcnt(0)
	s_barrier
	buffer_gl0_inv
	s_mov_b32 s0, 0xe8584caa
	v_lshlrev_b32_e32 v8, 5, v43
	s_mov_b32 s1, 0x3febb67a
	s_mov_b32 s5, 0xbfebb67a
	;; [unrolled: 1-line block ×3, first 2 shown]
	v_mov_b32_e32 v82, 5
	s_clause 0x1
	global_load_dwordx4 v[4:7], v8, s[12:13] offset:96
	global_load_dwordx4 v[8:11], v8, s[12:13] offset:112
	ds_read_b128 v[12:15], v49 offset:4224
	ds_read_b128 v[16:19], v49 offset:8448
	;; [unrolled: 1-line block ×7, first 2 shown]
	ds_read_b128 v[52:55], v51
	ds_read_b128 v[56:59], v49 offset:1408
	s_waitcnt vmcnt(0) lgkmcnt(0)
	s_barrier
	buffer_gl0_inv
	v_mul_f64 v[60:61], v[14:15], v[6:7]
	v_mul_f64 v[62:63], v[18:19], v[10:11]
	;; [unrolled: 1-line block ×12, first 2 shown]
	v_fma_f64 v[12:13], v[12:13], v[4:5], -v[60:61]
	v_fma_f64 v[16:17], v[16:17], v[8:9], -v[62:63]
	v_fma_f64 v[14:15], v[14:15], v[4:5], v[64:65]
	v_fma_f64 v[18:19], v[18:19], v[8:9], v[66:67]
	v_fma_f64 v[20:21], v[20:21], v[4:5], -v[68:69]
	v_fma_f64 v[24:25], v[24:25], v[8:9], -v[70:71]
	v_fma_f64 v[22:23], v[22:23], v[4:5], v[72:73]
	v_fma_f64 v[26:27], v[26:27], v[8:9], v[74:75]
	;; [unrolled: 4-line block ×3, first 2 shown]
	v_lshrrev_b32_e32 v6, 3, v48
	v_lshrrev_b32_e32 v7, 3, v41
	;; [unrolled: 1-line block ×3, first 2 shown]
	v_and_b32_e32 v10, 0xff, v48
	v_and_b32_e32 v34, 0xff, v41
	v_mul_u32_u24_e32 v64, 24, v6
	v_mul_u32_u24_e32 v65, 24, v7
	;; [unrolled: 1-line block ×3, first 2 shown]
	v_mov_b32_e32 v60, 0xaaab
	v_mul_lo_u16 v66, 0xab, v10
	v_mul_lo_u16 v84, 0xab, v34
	v_add_f64 v[6:7], v[12:13], v[16:17]
	v_or_b32_e32 v86, v64, v43
	v_add_f64 v[8:9], v[14:15], v[18:19]
	v_mul_u32_u24_sdwa v85, v42, v60 dst_sel:DWORD dst_unused:UNUSED_PAD src0_sel:WORD_0 src1_sel:DWORD
	v_add_f64 v[10:11], v[20:21], v[24:25]
	v_lshrrev_b16 v87, 12, v66
	v_add_f64 v[34:35], v[22:23], v[26:27]
	v_or_b32_e32 v88, v65, v43
	v_add_f64 v[60:61], v[28:29], v[32:33]
	v_add_f64 v[64:65], v[52:53], v[12:13]
	v_add_f64 v[62:63], v[4:5], v[30:31]
	v_add_f64 v[66:67], v[14:15], -v[18:19]
	v_add_f64 v[14:15], v[54:55], v[14:15]
	v_add_f64 v[76:77], v[12:13], -v[16:17]
	v_add_f64 v[68:69], v[56:57], v[20:21]
	v_add_f64 v[70:71], v[58:59], v[22:23]
	v_add_f64 v[78:79], v[22:23], -v[26:27]
	v_add_f64 v[80:81], v[20:21], -v[24:25]
	v_add_f64 v[74:75], v[38:39], v[4:5]
	v_add_f64 v[72:73], v[36:37], v[28:29]
	v_or_b32_e32 v43, v83, v43
	v_lshrrev_b16 v83, 12, v84
	v_fma_f64 v[52:53], v[6:7], -0.5, v[52:53]
	v_lshrrev_b32_e32 v84, 20, v85
	v_fma_f64 v[54:55], v[8:9], -0.5, v[54:55]
	v_lshlrev_b32_e32 v43, 4, v43
	v_fma_f64 v[56:57], v[10:11], -0.5, v[56:57]
	v_fma_f64 v[34:35], v[34:35], -0.5, v[58:59]
	v_add_f64 v[58:59], v[4:5], -v[30:31]
	v_fma_f64 v[36:37], v[60:61], -0.5, v[36:37]
	v_add_f64 v[60:61], v[28:29], -v[32:33]
	v_fma_f64 v[38:39], v[62:63], -0.5, v[38:39]
	v_add_f64 v[4:5], v[64:65], v[16:17]
	v_add_f64 v[6:7], v[14:15], v[18:19]
	v_mul_lo_u16 v62, v87, 24
	v_add_f64 v[8:9], v[68:69], v[24:25]
	v_add_f64 v[10:11], v[70:71], v[26:27]
	v_add3_u32 v43, 0, v43, v40
	v_add_f64 v[14:15], v[74:75], v[30:31]
	v_add_f64 v[12:13], v[72:73], v[32:33]
	v_fma_f64 v[16:17], v[66:67], s[0:1], v[52:53]
	v_fma_f64 v[20:21], v[66:67], s[4:5], v[52:53]
	;; [unrolled: 1-line block ×12, first 2 shown]
	v_mul_lo_u16 v54, v83, 24
	v_lshlrev_b32_e32 v52, 4, v86
	v_mul_lo_u16 v55, v84, 24
	v_lshlrev_b32_e32 v53, 4, v88
	v_sub_nc_u16 v80, v48, v62
	v_sub_nc_u16 v81, v41, v54
	v_add3_u32 v52, 0, v52, v40
	v_sub_nc_u16 v85, v42, v55
	v_add3_u32 v41, 0, v53, v40
	v_lshlrev_b32_sdwa v42, v82, v80 dst_sel:DWORD dst_unused:UNUSED_PAD src0_sel:DWORD src1_sel:BYTE_0
	v_lshlrev_b32_sdwa v53, v82, v81 dst_sel:DWORD dst_unused:UNUSED_PAD src0_sel:DWORD src1_sel:BYTE_0
	ds_write_b128 v52, v[4:7]
	ds_write_b128 v52, v[16:19] offset:128
	ds_write_b128 v52, v[20:23] offset:256
	ds_write_b128 v41, v[8:11]
	ds_write_b128 v41, v[24:27] offset:128
	ds_write_b128 v41, v[28:31] offset:256
	;; [unrolled: 3-line block ×3, first 2 shown]
	v_lshlrev_b32_sdwa v24, v82, v85 dst_sel:DWORD dst_unused:UNUSED_PAD src0_sel:DWORD src1_sel:WORD_0
	s_waitcnt lgkmcnt(0)
	s_barrier
	buffer_gl0_inv
	s_clause 0x5
	global_load_dwordx4 v[4:7], v42, s[12:13] offset:352
	global_load_dwordx4 v[8:11], v42, s[12:13] offset:368
	;; [unrolled: 1-line block ×6, first 2 shown]
	ds_read_b128 v[28:31], v49 offset:4224
	ds_read_b128 v[32:35], v49 offset:8448
	;; [unrolled: 1-line block ×7, first 2 shown]
	v_mov_b32_e32 v43, 4
	v_mad_u32_u24 v82, 0x480, v84, 0
	s_waitcnt vmcnt(3) lgkmcnt(4)
	v_mul_f64 v[70:71], v[38:39], v[14:15]
	v_mul_f64 v[41:42], v[30:31], v[6:7]
	;; [unrolled: 1-line block ×5, first 2 shown]
	s_waitcnt vmcnt(2) lgkmcnt(3)
	v_mul_f64 v[72:73], v[54:55], v[18:19]
	v_mul_f64 v[14:15], v[36:37], v[14:15]
	;; [unrolled: 1-line block ×3, first 2 shown]
	s_waitcnt vmcnt(1) lgkmcnt(2)
	v_mul_f64 v[74:75], v[58:59], v[22:23]
	s_waitcnt vmcnt(0) lgkmcnt(1)
	v_mul_f64 v[76:77], v[62:63], v[26:27]
	v_mul_f64 v[22:23], v[56:57], v[22:23]
	;; [unrolled: 1-line block ×3, first 2 shown]
	v_fma_f64 v[36:37], v[36:37], v[12:13], -v[70:71]
	v_fma_f64 v[28:29], v[28:29], v[4:5], -v[41:42]
	;; [unrolled: 1-line block ×3, first 2 shown]
	v_fma_f64 v[30:31], v[30:31], v[4:5], v[6:7]
	v_fma_f64 v[34:35], v[34:35], v[8:9], v[10:11]
	v_fma_f64 v[41:42], v[52:53], v[16:17], -v[72:73]
	v_fma_f64 v[12:13], v[38:39], v[12:13], v[14:15]
	v_fma_f64 v[14:15], v[54:55], v[16:17], v[18:19]
	v_fma_f64 v[16:17], v[56:57], v[20:21], -v[74:75]
	v_fma_f64 v[18:19], v[60:61], v[24:25], -v[76:77]
	v_fma_f64 v[20:21], v[58:59], v[20:21], v[22:23]
	v_fma_f64 v[24:25], v[62:63], v[24:25], v[26:27]
	ds_read_b128 v[4:7], v51
	ds_read_b128 v[8:11], v49 offset:1408
	s_waitcnt lgkmcnt(0)
	s_barrier
	buffer_gl0_inv
	v_add_f64 v[22:23], v[28:29], v[32:33]
	v_add_f64 v[76:77], v[28:29], -v[32:33]
	v_add_f64 v[26:27], v[30:31], v[34:35]
	v_add_f64 v[38:39], v[36:37], v[41:42]
	v_add_f64 v[60:61], v[30:31], -v[34:35]
	v_add_f64 v[52:53], v[12:13], v[14:15]
	v_add_f64 v[70:71], v[64:65], v[16:17]
	;; [unrolled: 1-line block ×9, first 2 shown]
	v_add_f64 v[12:13], v[12:13], -v[14:15]
	v_add_f64 v[36:37], v[36:37], -v[41:42]
	;; [unrolled: 1-line block ×3, first 2 shown]
	v_fma_f64 v[74:75], v[22:23], -0.5, v[4:5]
	v_fma_f64 v[26:27], v[26:27], -0.5, v[6:7]
	;; [unrolled: 1-line block ×4, first 2 shown]
	v_add_f64 v[28:29], v[70:71], v[18:19]
	v_fma_f64 v[54:55], v[54:55], -0.5, v[64:65]
	v_add_f64 v[64:65], v[16:17], -v[18:19]
	v_fma_f64 v[56:57], v[56:57], -0.5, v[66:67]
	v_add_f64 v[4:5], v[58:59], v[32:33]
	v_add_f64 v[6:7], v[30:31], v[34:35]
	;; [unrolled: 1-line block ×5, first 2 shown]
	v_and_b32_e32 v66, 0xffff, v87
	v_and_b32_e32 v67, 0xffff, v83
	v_mad_u32_u24 v41, 0x480, v66, 0
	v_mad_u32_u24 v42, 0x480, v67, 0
	v_fma_f64 v[16:17], v[60:61], s[0:1], v[74:75]
	v_fma_f64 v[8:9], v[60:61], s[4:5], v[74:75]
	;; [unrolled: 1-line block ×12, first 2 shown]
	v_lshlrev_b32_sdwa v52, v43, v80 dst_sel:DWORD dst_unused:UNUSED_PAD src0_sel:DWORD src1_sel:BYTE_0
	v_lshlrev_b32_sdwa v53, v43, v81 dst_sel:DWORD dst_unused:UNUSED_PAD src0_sel:DWORD src1_sel:BYTE_0
	v_lshlrev_b32_sdwa v43, v43, v85 dst_sel:DWORD dst_unused:UNUSED_PAD src0_sel:DWORD src1_sel:WORD_0
	v_cmp_gt_u32_e64 s0, 0x48, v48
	v_add3_u32 v41, v41, v52, v40
	v_add3_u32 v42, v42, v53, v40
	;; [unrolled: 1-line block ×3, first 2 shown]
	ds_write_b128 v41, v[4:7]
	ds_write_b128 v41, v[16:19] offset:384
	ds_write_b128 v41, v[8:11] offset:768
	ds_write_b128 v42, v[20:23]
	ds_write_b128 v42, v[24:27] offset:384
	ds_write_b128 v42, v[32:35] offset:768
	ds_write_b128 v40, v[28:31]
	ds_write_b128 v40, v[36:39] offset:384
	ds_write_b128 v40, v[12:15] offset:768
	s_waitcnt lgkmcnt(0)
	s_barrier
	buffer_gl0_inv
                                        ; implicit-def: $vgpr42_vgpr43
	s_and_saveexec_b32 s1, s0
	s_cbranch_execz .LBB0_33
; %bb.32:
	ds_read_b128 v[4:7], v51
	ds_read_b128 v[16:19], v49 offset:1152
	ds_read_b128 v[8:11], v49 offset:2304
	;; [unrolled: 1-line block ×10, first 2 shown]
.LBB0_33:
	s_or_b32 exec_lo, exec_lo, s1
	s_waitcnt lgkmcnt(0)
	s_barrier
	buffer_gl0_inv
	s_and_saveexec_b32 s33, s0
	s_cbranch_execz .LBB0_35
; %bb.34:
	v_add_nc_u32_e32 v52, 0xffffffb8, v48
	v_mov_b32_e32 v53, 0
	s_mov_b32 s14, 0x43842ef
	s_mov_b32 s4, 0xd9c712b6
	;; [unrolled: 1-line block ×3, first 2 shown]
	v_cndmask_b32_e64 v52, v52, v48, s0
	s_mov_b32 s8, 0x7f775887
	s_mov_b32 s18, 0xbb3a28a1
	s_mov_b32 s20, 0xf8bb580b
	s_mov_b32 s6, 0x9bcd5057
	v_mul_i32_i24_e32 v52, 10, v52
	s_mov_b32 s22, 0xfd768dbf
	s_mov_b32 s15, 0x3fefac9e
	;; [unrolled: 1-line block ×4, first 2 shown]
	v_lshlrev_b64 v[52:53], 4, v[52:53]
	s_mov_b32 s9, 0xbfe4f49e
	s_mov_b32 s19, 0x3fe82f19
	;; [unrolled: 1-line block ×5, first 2 shown]
	v_add_co_u32 v88, s0, s12, v52
	v_add_co_ci_u32_e64 v89, s0, s13, v53, s0
	s_mov_b32 s0, 0x640f44db
	s_mov_b32 s12, 0x8764f0ba
	;; [unrolled: 1-line block ×3, first 2 shown]
	s_clause 0x9
	global_load_dwordx4 v[52:55], v[88:89], off offset:1120
	global_load_dwordx4 v[56:59], v[88:89], off offset:1264
	;; [unrolled: 1-line block ×10, first 2 shown]
	s_mov_b32 s13, 0x3feaeb8c
	s_mov_b32 s27, 0xbfefac9e
	;; [unrolled: 1-line block ×11, first 2 shown]
	s_waitcnt vmcnt(9)
	v_mul_f64 v[92:93], v[16:17], v[54:55]
	s_waitcnt vmcnt(8)
	v_mul_f64 v[94:95], v[40:41], v[58:59]
	v_mul_f64 v[54:55], v[18:19], v[54:55]
	;; [unrolled: 1-line block ×3, first 2 shown]
	s_waitcnt vmcnt(7)
	v_mul_f64 v[96:97], v[32:33], v[62:63]
	v_mul_f64 v[62:63], v[34:35], v[62:63]
	s_waitcnt vmcnt(5)
	v_mul_f64 v[100:101], v[24:25], v[70:71]
	v_mul_f64 v[70:71], v[26:27], v[70:71]
	s_waitcnt vmcnt(1)
	v_mul_f64 v[108:109], v[8:9], v[86:87]
	s_waitcnt vmcnt(0)
	v_mul_f64 v[110:111], v[0:1], v[90:91]
	v_mul_f64 v[86:87], v[10:11], v[86:87]
	;; [unrolled: 1-line block ×11, first 2 shown]
	v_fma_f64 v[92:93], v[18:19], v[52:53], v[92:93]
	v_fma_f64 v[18:19], v[42:43], v[56:57], v[94:95]
	v_fma_f64 v[52:53], v[16:17], v[52:53], -v[54:55]
	v_fma_f64 v[16:17], v[40:41], v[56:57], -v[58:59]
	v_fma_f64 v[34:35], v[34:35], v[60:61], v[96:97]
	v_fma_f64 v[32:33], v[32:33], v[60:61], -v[62:63]
	v_fma_f64 v[40:41], v[26:27], v[68:69], v[100:101]
	v_fma_f64 v[42:43], v[24:25], v[68:69], -v[70:71]
	v_fma_f64 v[10:11], v[10:11], v[84:85], v[108:109]
	v_fma_f64 v[2:3], v[2:3], v[88:89], v[110:111]
	v_fma_f64 v[8:9], v[8:9], v[84:85], -v[86:87]
	v_fma_f64 v[0:1], v[0:1], v[88:89], -v[90:91]
	v_fma_f64 v[24:25], v[38:39], v[72:73], v[102:103]
	v_fma_f64 v[26:27], v[36:37], v[72:73], -v[74:75]
	v_fma_f64 v[22:23], v[22:23], v[76:77], v[104:105]
	;; [unrolled: 2-line block ×3, first 2 shown]
	v_fma_f64 v[14:15], v[14:15], v[80:81], v[106:107]
	v_fma_f64 v[28:29], v[28:29], v[64:65], -v[66:67]
	v_fma_f64 v[12:13], v[12:13], v[80:81], -v[82:83]
	v_add_f64 v[60:61], v[6:7], v[92:93]
	v_add_f64 v[36:37], v[92:93], v[18:19]
	v_add_f64 v[38:39], v[92:93], -v[18:19]
	v_add_f64 v[54:55], v[52:53], -v[16:17]
	v_add_f64 v[56:57], v[52:53], v[16:17]
	v_add_f64 v[52:53], v[4:5], v[52:53]
	;; [unrolled: 1-line block ×3, first 2 shown]
	v_add_f64 v[84:85], v[10:11], -v[2:3]
	v_add_f64 v[74:75], v[8:9], -v[0:1]
	v_add_f64 v[86:87], v[8:9], v[0:1]
	v_add_f64 v[64:65], v[40:41], v[24:25]
	v_add_f64 v[80:81], v[40:41], -v[24:25]
	v_add_f64 v[66:67], v[42:43], -v[26:27]
	v_add_f64 v[58:59], v[34:35], v[30:31]
	v_add_f64 v[68:69], v[22:23], v[14:15]
	v_add_f64 v[76:77], v[34:35], -v[30:31]
	v_add_f64 v[88:89], v[22:23], -v[14:15]
	;; [unrolled: 1-line block ×4, first 2 shown]
	v_add_f64 v[10:11], v[60:61], v[10:11]
	v_mul_f64 v[92:93], v[36:37], s[6:7]
	v_mul_f64 v[94:95], v[38:39], s[34:35]
	;; [unrolled: 1-line block ×4, first 2 shown]
	v_add_f64 v[8:9], v[52:53], v[8:9]
	v_mul_f64 v[100:101], v[36:37], s[0:1]
	v_mul_f64 v[102:103], v[38:39], s[26:27]
	;; [unrolled: 1-line block ×6, first 2 shown]
	v_add_f64 v[78:79], v[32:33], v[28:29]
	v_add_f64 v[82:83], v[42:43], v[26:27]
	;; [unrolled: 1-line block ×3, first 2 shown]
	v_mul_f64 v[116:117], v[64:65], s[4:5]
	v_mul_f64 v[108:109], v[58:59], s[0:1]
	;; [unrolled: 1-line block ×7, first 2 shown]
	v_add_f64 v[10:11], v[10:11], v[22:23]
	v_mul_f64 v[120:121], v[64:65], s[12:13]
	v_mul_f64 v[122:123], v[64:65], s[0:1]
	v_mul_f64 v[64:65], v[64:65], s[8:9]
	v_mul_f64 v[124:125], v[68:69], s[8:9]
	v_add_f64 v[8:9], v[8:9], v[20:21]
	v_mul_f64 v[126:127], v[68:69], s[12:13]
	v_mul_f64 v[128:129], v[68:69], s[4:5]
	;; [unrolled: 1-line block ×16, first 2 shown]
	v_add_f64 v[10:11], v[10:11], v[40:41]
	v_mul_f64 v[148:149], v[80:81], s[20:21]
	v_mul_f64 v[150:151], v[80:81], s[14:15]
	;; [unrolled: 1-line block ×4, first 2 shown]
	v_add_f64 v[8:9], v[8:9], v[42:43]
	v_mul_f64 v[154:155], v[84:85], s[14:15]
	v_mul_f64 v[156:157], v[84:85], s[22:23]
	;; [unrolled: 1-line block ×9, first 2 shown]
	v_fma_f64 v[168:169], v[54:55], s[22:23], v[92:93]
	v_fma_f64 v[170:171], v[56:57], s[6:7], v[94:95]
	;; [unrolled: 1-line block ×3, first 2 shown]
	v_fma_f64 v[94:95], v[56:57], s[6:7], -v[94:95]
	v_fma_f64 v[172:173], v[54:55], s[18:19], v[96:97]
	v_fma_f64 v[174:175], v[56:57], s[8:9], v[98:99]
	;; [unrolled: 1-line block ×10, first 2 shown]
	v_fma_f64 v[38:39], v[56:57], s[12:13], -v[38:39]
	v_fma_f64 v[182:183], v[56:57], s[4:5], v[106:107]
	v_fma_f64 v[106:107], v[56:57], s[4:5], -v[106:107]
	v_fma_f64 v[178:179], v[56:57], s[0:1], v[102:103]
	v_fma_f64 v[102:103], v[56:57], s[0:1], -v[102:103]
	v_fma_f64 v[98:99], v[56:57], s[8:9], -v[98:99]
	v_add_f64 v[10:11], v[10:11], v[34:35]
	v_add_f64 v[8:9], v[8:9], v[32:33]
	v_fma_f64 v[56:57], v[62:63], s[14:15], v[108:109]
	v_fma_f64 v[108:109], v[62:63], s[26:27], v[108:109]
	;; [unrolled: 1-line block ×41, first 2 shown]
	v_fma_f64 v[72:73], v[78:79], s[0:1], -v[140:141]
	v_fma_f64 v[74:75], v[78:79], s[4:5], v[142:143]
	v_fma_f64 v[140:141], v[78:79], s[4:5], -v[142:143]
	v_fma_f64 v[142:143], v[78:79], s[8:9], v[144:145]
	;; [unrolled: 2-line block ×19, first 2 shown]
	v_fma_f64 v[32:33], v[90:91], s[0:1], -v[88:89]
	v_add_f64 v[34:35], v[6:7], v[168:169]
	v_add_f64 v[88:89], v[4:5], v[170:171]
	;; [unrolled: 1-line block ×110, first 2 shown]
	ds_write_b128 v49, v[28:31] offset:1152
	ds_write_b128 v49, v[24:27] offset:2304
	;; [unrolled: 1-line block ×9, first 2 shown]
	ds_write_b128 v51, v[16:19]
	ds_write_b128 v49, v[40:43] offset:11520
.LBB0_35:
	s_or_b32 exec_lo, exec_lo, s33
	s_waitcnt lgkmcnt(0)
	s_barrier
	buffer_gl0_inv
	s_and_saveexec_b32 s0, vcc_lo
	s_cbranch_execz .LBB0_37
; %bb.36:
	v_mul_lo_u32 v2, s3, v46
	v_mul_lo_u32 v3, s2, v47
	v_mad_u64_u32 v[0:1], null, s2, v46, 0
	v_mov_b32_e32 v49, 0
	v_lshlrev_b64 v[8:9], 4, v[44:45]
	v_lshl_add_u32 v28, v48, 4, v50
	v_add_nc_u32_e32 v10, 0x58, v48
	v_add_nc_u32_e32 v12, 0xb0, v48
	v_lshlrev_b64 v[14:15], 4, v[48:49]
	v_add3_u32 v1, v1, v3, v2
	v_mov_b32_e32 v11, v49
	v_mov_b32_e32 v13, v49
	v_add_nc_u32_e32 v22, 0x108, v48
	v_mov_b32_e32 v23, v49
	v_lshlrev_b64 v[16:17], 4, v[0:1]
	ds_read_b128 v[0:3], v28
	ds_read_b128 v[4:7], v28 offset:1408
	v_add_nc_u32_e32 v24, 0x160, v48
	v_mov_b32_e32 v25, v49
	v_lshlrev_b64 v[22:23], 4, v[22:23]
	v_add_co_u32 v18, vcc_lo, s10, v16
	v_add_co_ci_u32_e32 v19, vcc_lo, s11, v17, vcc_lo
	v_lshlrev_b64 v[16:17], 4, v[10:11]
	v_add_co_u32 v30, vcc_lo, v18, v8
	v_add_co_ci_u32_e32 v31, vcc_lo, v19, v9, vcc_lo
	;; [unrolled: 3-line block ×3, first 2 shown]
	ds_read_b128 v[8:11], v28 offset:2816
	ds_read_b128 v[12:15], v28 offset:4224
	v_add_co_u32 v16, vcc_lo, v30, v16
	v_add_co_ci_u32_e32 v17, vcc_lo, v31, v17, vcc_lo
	v_add_co_u32 v18, vcc_lo, v30, v18
	v_add_co_ci_u32_e32 v19, vcc_lo, v31, v19, vcc_lo
	v_add_co_u32 v22, vcc_lo, v30, v22
	s_waitcnt lgkmcnt(3)
	global_store_dwordx4 v[20:21], v[0:3], off
	s_waitcnt lgkmcnt(2)
	global_store_dwordx4 v[16:17], v[4:7], off
	v_add_nc_u32_e32 v2, 0x1b8, v48
	v_mov_b32_e32 v3, v49
	v_add_co_ci_u32_e32 v23, vcc_lo, v31, v23, vcc_lo
	v_lshlrev_b64 v[0:1], 4, v[24:25]
	s_waitcnt lgkmcnt(1)
	global_store_dwordx4 v[18:19], v[8:11], off
	s_waitcnt lgkmcnt(0)
	global_store_dwordx4 v[22:23], v[12:15], off
	v_lshlrev_b64 v[8:9], 4, v[2:3]
	v_add_co_u32 v20, vcc_lo, v30, v0
	v_add_nc_u32_e32 v10, 0x210, v48
	v_mov_b32_e32 v11, v49
	v_add_co_ci_u32_e32 v21, vcc_lo, v31, v1, vcc_lo
	v_add_co_u32 v22, vcc_lo, v30, v8
	ds_read_b128 v[0:3], v28 offset:5632
	ds_read_b128 v[4:7], v28 offset:7040
	v_add_co_ci_u32_e32 v23, vcc_lo, v31, v9, vcc_lo
	v_lshlrev_b64 v[26:27], 4, v[10:11]
	ds_read_b128 v[8:11], v28 offset:8448
	ds_read_b128 v[12:15], v28 offset:9856
	;; [unrolled: 1-line block ×3, first 2 shown]
	v_add_nc_u32_e32 v24, 0x268, v48
	v_add_nc_u32_e32 v48, 0x2c0, v48
	v_add_co_u32 v26, vcc_lo, v30, v26
	v_lshlrev_b64 v[24:25], 4, v[24:25]
	v_lshlrev_b64 v[28:29], 4, v[48:49]
	v_add_co_ci_u32_e32 v27, vcc_lo, v31, v27, vcc_lo
	v_add_co_u32 v24, vcc_lo, v30, v24
	v_add_co_ci_u32_e32 v25, vcc_lo, v31, v25, vcc_lo
	v_add_co_u32 v28, vcc_lo, v30, v28
	v_add_co_ci_u32_e32 v29, vcc_lo, v31, v29, vcc_lo
	s_waitcnt lgkmcnt(4)
	global_store_dwordx4 v[20:21], v[0:3], off
	s_waitcnt lgkmcnt(3)
	global_store_dwordx4 v[22:23], v[4:7], off
	;; [unrolled: 2-line block ×5, first 2 shown]
.LBB0_37:
	s_endpgm
	.section	.rodata,"a",@progbits
	.p2align	6, 0x0
	.amdhsa_kernel fft_rtc_fwd_len792_factors_2_2_2_3_3_11_wgs_176_tpt_88_dp_op_CI_CI_unitstride_sbrr_C2R_dirReg
		.amdhsa_group_segment_fixed_size 0
		.amdhsa_private_segment_fixed_size 0
		.amdhsa_kernarg_size 104
		.amdhsa_user_sgpr_count 6
		.amdhsa_user_sgpr_private_segment_buffer 1
		.amdhsa_user_sgpr_dispatch_ptr 0
		.amdhsa_user_sgpr_queue_ptr 0
		.amdhsa_user_sgpr_kernarg_segment_ptr 1
		.amdhsa_user_sgpr_dispatch_id 0
		.amdhsa_user_sgpr_flat_scratch_init 0
		.amdhsa_user_sgpr_private_segment_size 0
		.amdhsa_wavefront_size32 1
		.amdhsa_uses_dynamic_stack 0
		.amdhsa_system_sgpr_private_segment_wavefront_offset 0
		.amdhsa_system_sgpr_workgroup_id_x 1
		.amdhsa_system_sgpr_workgroup_id_y 0
		.amdhsa_system_sgpr_workgroup_id_z 0
		.amdhsa_system_sgpr_workgroup_info 0
		.amdhsa_system_vgpr_workitem_id 0
		.amdhsa_next_free_vgpr 242
		.amdhsa_next_free_sgpr 36
		.amdhsa_reserve_vcc 1
		.amdhsa_reserve_flat_scratch 0
		.amdhsa_float_round_mode_32 0
		.amdhsa_float_round_mode_16_64 0
		.amdhsa_float_denorm_mode_32 3
		.amdhsa_float_denorm_mode_16_64 3
		.amdhsa_dx10_clamp 1
		.amdhsa_ieee_mode 1
		.amdhsa_fp16_overflow 0
		.amdhsa_workgroup_processor_mode 1
		.amdhsa_memory_ordered 1
		.amdhsa_forward_progress 0
		.amdhsa_shared_vgpr_count 0
		.amdhsa_exception_fp_ieee_invalid_op 0
		.amdhsa_exception_fp_denorm_src 0
		.amdhsa_exception_fp_ieee_div_zero 0
		.amdhsa_exception_fp_ieee_overflow 0
		.amdhsa_exception_fp_ieee_underflow 0
		.amdhsa_exception_fp_ieee_inexact 0
		.amdhsa_exception_int_div_zero 0
	.end_amdhsa_kernel
	.text
.Lfunc_end0:
	.size	fft_rtc_fwd_len792_factors_2_2_2_3_3_11_wgs_176_tpt_88_dp_op_CI_CI_unitstride_sbrr_C2R_dirReg, .Lfunc_end0-fft_rtc_fwd_len792_factors_2_2_2_3_3_11_wgs_176_tpt_88_dp_op_CI_CI_unitstride_sbrr_C2R_dirReg
                                        ; -- End function
	.section	.AMDGPU.csdata,"",@progbits
; Kernel info:
; codeLenInByte = 10240
; NumSgprs: 38
; NumVgprs: 242
; ScratchSize: 0
; MemoryBound: 0
; FloatMode: 240
; IeeeMode: 1
; LDSByteSize: 0 bytes/workgroup (compile time only)
; SGPRBlocks: 4
; VGPRBlocks: 30
; NumSGPRsForWavesPerEU: 38
; NumVGPRsForWavesPerEU: 242
; Occupancy: 4
; WaveLimiterHint : 1
; COMPUTE_PGM_RSRC2:SCRATCH_EN: 0
; COMPUTE_PGM_RSRC2:USER_SGPR: 6
; COMPUTE_PGM_RSRC2:TRAP_HANDLER: 0
; COMPUTE_PGM_RSRC2:TGID_X_EN: 1
; COMPUTE_PGM_RSRC2:TGID_Y_EN: 0
; COMPUTE_PGM_RSRC2:TGID_Z_EN: 0
; COMPUTE_PGM_RSRC2:TIDIG_COMP_CNT: 0
	.text
	.p2alignl 6, 3214868480
	.fill 48, 4, 3214868480
	.type	__hip_cuid_aa85b8a60b7aa7d0,@object ; @__hip_cuid_aa85b8a60b7aa7d0
	.section	.bss,"aw",@nobits
	.globl	__hip_cuid_aa85b8a60b7aa7d0
__hip_cuid_aa85b8a60b7aa7d0:
	.byte	0                               ; 0x0
	.size	__hip_cuid_aa85b8a60b7aa7d0, 1

	.ident	"AMD clang version 19.0.0git (https://github.com/RadeonOpenCompute/llvm-project roc-6.4.0 25133 c7fe45cf4b819c5991fe208aaa96edf142730f1d)"
	.section	".note.GNU-stack","",@progbits
	.addrsig
	.addrsig_sym __hip_cuid_aa85b8a60b7aa7d0
	.amdgpu_metadata
---
amdhsa.kernels:
  - .args:
      - .actual_access:  read_only
        .address_space:  global
        .offset:         0
        .size:           8
        .value_kind:     global_buffer
      - .offset:         8
        .size:           8
        .value_kind:     by_value
      - .actual_access:  read_only
        .address_space:  global
        .offset:         16
        .size:           8
        .value_kind:     global_buffer
      - .actual_access:  read_only
        .address_space:  global
        .offset:         24
        .size:           8
        .value_kind:     global_buffer
      - .actual_access:  read_only
        .address_space:  global
        .offset:         32
        .size:           8
        .value_kind:     global_buffer
      - .offset:         40
        .size:           8
        .value_kind:     by_value
      - .actual_access:  read_only
        .address_space:  global
        .offset:         48
        .size:           8
        .value_kind:     global_buffer
      - .actual_access:  read_only
        .address_space:  global
        .offset:         56
        .size:           8
        .value_kind:     global_buffer
      - .offset:         64
        .size:           4
        .value_kind:     by_value
      - .actual_access:  read_only
        .address_space:  global
        .offset:         72
        .size:           8
        .value_kind:     global_buffer
      - .actual_access:  read_only
        .address_space:  global
        .offset:         80
        .size:           8
        .value_kind:     global_buffer
      - .actual_access:  read_only
        .address_space:  global
        .offset:         88
        .size:           8
        .value_kind:     global_buffer
      - .actual_access:  write_only
        .address_space:  global
        .offset:         96
        .size:           8
        .value_kind:     global_buffer
    .group_segment_fixed_size: 0
    .kernarg_segment_align: 8
    .kernarg_segment_size: 104
    .language:       OpenCL C
    .language_version:
      - 2
      - 0
    .max_flat_workgroup_size: 176
    .name:           fft_rtc_fwd_len792_factors_2_2_2_3_3_11_wgs_176_tpt_88_dp_op_CI_CI_unitstride_sbrr_C2R_dirReg
    .private_segment_fixed_size: 0
    .sgpr_count:     38
    .sgpr_spill_count: 0
    .symbol:         fft_rtc_fwd_len792_factors_2_2_2_3_3_11_wgs_176_tpt_88_dp_op_CI_CI_unitstride_sbrr_C2R_dirReg.kd
    .uniform_work_group_size: 1
    .uses_dynamic_stack: false
    .vgpr_count:     242
    .vgpr_spill_count: 0
    .wavefront_size: 32
    .workgroup_processor_mode: 1
amdhsa.target:   amdgcn-amd-amdhsa--gfx1030
amdhsa.version:
  - 1
  - 2
...

	.end_amdgpu_metadata
